;; amdgpu-corpus repo=ROCm/rocFFT kind=compiled arch=gfx1030 opt=O3
	.text
	.amdgcn_target "amdgcn-amd-amdhsa--gfx1030"
	.amdhsa_code_object_version 6
	.protected	fft_rtc_fwd_len1323_factors_3_3_3_7_7_wgs_189_tpt_189_dp_ip_CI_unitstride_sbrr_dirReg ; -- Begin function fft_rtc_fwd_len1323_factors_3_3_3_7_7_wgs_189_tpt_189_dp_ip_CI_unitstride_sbrr_dirReg
	.globl	fft_rtc_fwd_len1323_factors_3_3_3_7_7_wgs_189_tpt_189_dp_ip_CI_unitstride_sbrr_dirReg
	.p2align	8
	.type	fft_rtc_fwd_len1323_factors_3_3_3_7_7_wgs_189_tpt_189_dp_ip_CI_unitstride_sbrr_dirReg,@function
fft_rtc_fwd_len1323_factors_3_3_3_7_7_wgs_189_tpt_189_dp_ip_CI_unitstride_sbrr_dirReg: ; @fft_rtc_fwd_len1323_factors_3_3_3_7_7_wgs_189_tpt_189_dp_ip_CI_unitstride_sbrr_dirReg
; %bb.0:
	s_clause 0x2
	s_load_dwordx4 s[8:11], s[4:5], 0x0
	s_load_dwordx2 s[2:3], s[4:5], 0x50
	s_load_dwordx2 s[12:13], s[4:5], 0x18
	v_mul_u32_u24_e32 v1, 0x15b, v0
	v_mov_b32_e32 v3, 0
	v_add_nc_u32_sdwa v5, s6, v1 dst_sel:DWORD dst_unused:UNUSED_PAD src0_sel:DWORD src1_sel:WORD_1
	v_mov_b32_e32 v1, 0
	v_mov_b32_e32 v6, v3
	v_mov_b32_e32 v2, 0
	s_waitcnt lgkmcnt(0)
	v_cmp_lt_u64_e64 s0, s[10:11], 2
	s_and_b32 vcc_lo, exec_lo, s0
	s_cbranch_vccnz .LBB0_8
; %bb.1:
	s_load_dwordx2 s[0:1], s[4:5], 0x10
	v_mov_b32_e32 v1, 0
	s_add_u32 s6, s12, 8
	v_mov_b32_e32 v2, 0
	s_addc_u32 s7, s13, 0
	s_mov_b64 s[16:17], 1
	s_waitcnt lgkmcnt(0)
	s_add_u32 s14, s0, 8
	s_addc_u32 s15, s1, 0
.LBB0_2:                                ; =>This Inner Loop Header: Depth=1
	s_load_dwordx2 s[18:19], s[14:15], 0x0
                                        ; implicit-def: $vgpr7_vgpr8
	s_mov_b32 s0, exec_lo
	s_waitcnt lgkmcnt(0)
	v_or_b32_e32 v4, s19, v6
	v_cmpx_ne_u64_e32 0, v[3:4]
	s_xor_b32 s1, exec_lo, s0
	s_cbranch_execz .LBB0_4
; %bb.3:                                ;   in Loop: Header=BB0_2 Depth=1
	v_cvt_f32_u32_e32 v4, s18
	v_cvt_f32_u32_e32 v7, s19
	s_sub_u32 s0, 0, s18
	s_subb_u32 s20, 0, s19
	v_fmac_f32_e32 v4, 0x4f800000, v7
	v_rcp_f32_e32 v4, v4
	v_mul_f32_e32 v4, 0x5f7ffffc, v4
	v_mul_f32_e32 v7, 0x2f800000, v4
	v_trunc_f32_e32 v7, v7
	v_fmac_f32_e32 v4, 0xcf800000, v7
	v_cvt_u32_f32_e32 v7, v7
	v_cvt_u32_f32_e32 v4, v4
	v_mul_lo_u32 v8, s0, v7
	v_mul_hi_u32 v9, s0, v4
	v_mul_lo_u32 v10, s20, v4
	v_add_nc_u32_e32 v8, v9, v8
	v_mul_lo_u32 v9, s0, v4
	v_add_nc_u32_e32 v8, v8, v10
	v_mul_hi_u32 v10, v4, v9
	v_mul_lo_u32 v11, v4, v8
	v_mul_hi_u32 v12, v4, v8
	v_mul_hi_u32 v13, v7, v9
	v_mul_lo_u32 v9, v7, v9
	v_mul_hi_u32 v14, v7, v8
	v_mul_lo_u32 v8, v7, v8
	v_add_co_u32 v10, vcc_lo, v10, v11
	v_add_co_ci_u32_e32 v11, vcc_lo, 0, v12, vcc_lo
	v_add_co_u32 v9, vcc_lo, v10, v9
	v_add_co_ci_u32_e32 v9, vcc_lo, v11, v13, vcc_lo
	v_add_co_ci_u32_e32 v10, vcc_lo, 0, v14, vcc_lo
	v_add_co_u32 v8, vcc_lo, v9, v8
	v_add_co_ci_u32_e32 v9, vcc_lo, 0, v10, vcc_lo
	v_add_co_u32 v4, vcc_lo, v4, v8
	v_add_co_ci_u32_e32 v7, vcc_lo, v7, v9, vcc_lo
	v_mul_hi_u32 v8, s0, v4
	v_mul_lo_u32 v10, s20, v4
	v_mul_lo_u32 v9, s0, v7
	v_add_nc_u32_e32 v8, v8, v9
	v_mul_lo_u32 v9, s0, v4
	v_add_nc_u32_e32 v8, v8, v10
	v_mul_hi_u32 v10, v4, v9
	v_mul_lo_u32 v11, v4, v8
	v_mul_hi_u32 v12, v4, v8
	v_mul_hi_u32 v13, v7, v9
	v_mul_lo_u32 v9, v7, v9
	v_mul_hi_u32 v14, v7, v8
	v_mul_lo_u32 v8, v7, v8
	v_add_co_u32 v10, vcc_lo, v10, v11
	v_add_co_ci_u32_e32 v11, vcc_lo, 0, v12, vcc_lo
	v_add_co_u32 v9, vcc_lo, v10, v9
	v_add_co_ci_u32_e32 v9, vcc_lo, v11, v13, vcc_lo
	v_add_co_ci_u32_e32 v10, vcc_lo, 0, v14, vcc_lo
	v_add_co_u32 v8, vcc_lo, v9, v8
	v_add_co_ci_u32_e32 v9, vcc_lo, 0, v10, vcc_lo
	v_add_co_u32 v4, vcc_lo, v4, v8
	v_add_co_ci_u32_e32 v11, vcc_lo, v7, v9, vcc_lo
	v_mul_hi_u32 v13, v5, v4
	v_mad_u64_u32 v[9:10], null, v6, v4, 0
	v_mad_u64_u32 v[7:8], null, v5, v11, 0
	;; [unrolled: 1-line block ×3, first 2 shown]
	v_add_co_u32 v4, vcc_lo, v13, v7
	v_add_co_ci_u32_e32 v7, vcc_lo, 0, v8, vcc_lo
	v_add_co_u32 v4, vcc_lo, v4, v9
	v_add_co_ci_u32_e32 v4, vcc_lo, v7, v10, vcc_lo
	v_add_co_ci_u32_e32 v7, vcc_lo, 0, v12, vcc_lo
	v_add_co_u32 v4, vcc_lo, v4, v11
	v_add_co_ci_u32_e32 v9, vcc_lo, 0, v7, vcc_lo
	v_mul_lo_u32 v10, s19, v4
	v_mad_u64_u32 v[7:8], null, s18, v4, 0
	v_mul_lo_u32 v11, s18, v9
	v_sub_co_u32 v7, vcc_lo, v5, v7
	v_add3_u32 v8, v8, v11, v10
	v_sub_nc_u32_e32 v10, v6, v8
	v_subrev_co_ci_u32_e64 v10, s0, s19, v10, vcc_lo
	v_add_co_u32 v11, s0, v4, 2
	v_add_co_ci_u32_e64 v12, s0, 0, v9, s0
	v_sub_co_u32 v13, s0, v7, s18
	v_sub_co_ci_u32_e32 v8, vcc_lo, v6, v8, vcc_lo
	v_subrev_co_ci_u32_e64 v10, s0, 0, v10, s0
	v_cmp_le_u32_e32 vcc_lo, s18, v13
	v_cmp_eq_u32_e64 s0, s19, v8
	v_cndmask_b32_e64 v13, 0, -1, vcc_lo
	v_cmp_le_u32_e32 vcc_lo, s19, v10
	v_cndmask_b32_e64 v14, 0, -1, vcc_lo
	v_cmp_le_u32_e32 vcc_lo, s18, v7
	;; [unrolled: 2-line block ×3, first 2 shown]
	v_cndmask_b32_e64 v15, 0, -1, vcc_lo
	v_cmp_eq_u32_e32 vcc_lo, s19, v10
	v_cndmask_b32_e64 v7, v15, v7, s0
	v_cndmask_b32_e32 v10, v14, v13, vcc_lo
	v_add_co_u32 v13, vcc_lo, v4, 1
	v_add_co_ci_u32_e32 v14, vcc_lo, 0, v9, vcc_lo
	v_cmp_ne_u32_e32 vcc_lo, 0, v10
	v_cndmask_b32_e32 v8, v14, v12, vcc_lo
	v_cndmask_b32_e32 v10, v13, v11, vcc_lo
	v_cmp_ne_u32_e32 vcc_lo, 0, v7
	v_cndmask_b32_e32 v8, v9, v8, vcc_lo
	v_cndmask_b32_e32 v7, v4, v10, vcc_lo
.LBB0_4:                                ;   in Loop: Header=BB0_2 Depth=1
	s_andn2_saveexec_b32 s0, s1
	s_cbranch_execz .LBB0_6
; %bb.5:                                ;   in Loop: Header=BB0_2 Depth=1
	v_cvt_f32_u32_e32 v4, s18
	s_sub_i32 s1, 0, s18
	v_rcp_iflag_f32_e32 v4, v4
	v_mul_f32_e32 v4, 0x4f7ffffe, v4
	v_cvt_u32_f32_e32 v4, v4
	v_mul_lo_u32 v7, s1, v4
	v_mul_hi_u32 v7, v4, v7
	v_add_nc_u32_e32 v4, v4, v7
	v_mul_hi_u32 v4, v5, v4
	v_mul_lo_u32 v7, v4, s18
	v_add_nc_u32_e32 v8, 1, v4
	v_sub_nc_u32_e32 v7, v5, v7
	v_subrev_nc_u32_e32 v9, s18, v7
	v_cmp_le_u32_e32 vcc_lo, s18, v7
	v_cndmask_b32_e32 v7, v7, v9, vcc_lo
	v_cndmask_b32_e32 v4, v4, v8, vcc_lo
	v_cmp_le_u32_e32 vcc_lo, s18, v7
	v_add_nc_u32_e32 v8, 1, v4
	v_cndmask_b32_e32 v7, v4, v8, vcc_lo
	v_mov_b32_e32 v8, v3
.LBB0_6:                                ;   in Loop: Header=BB0_2 Depth=1
	s_or_b32 exec_lo, exec_lo, s0
	s_load_dwordx2 s[0:1], s[6:7], 0x0
	v_mul_lo_u32 v4, v8, s18
	v_mul_lo_u32 v11, v7, s19
	v_mad_u64_u32 v[9:10], null, v7, s18, 0
	s_add_u32 s16, s16, 1
	s_addc_u32 s17, s17, 0
	s_add_u32 s6, s6, 8
	s_addc_u32 s7, s7, 0
	;; [unrolled: 2-line block ×3, first 2 shown]
	v_add3_u32 v4, v10, v11, v4
	v_sub_co_u32 v5, vcc_lo, v5, v9
	v_sub_co_ci_u32_e32 v4, vcc_lo, v6, v4, vcc_lo
	s_waitcnt lgkmcnt(0)
	v_mul_lo_u32 v6, s1, v5
	v_mul_lo_u32 v4, s0, v4
	v_mad_u64_u32 v[1:2], null, s0, v5, v[1:2]
	v_cmp_ge_u64_e64 s0, s[16:17], s[10:11]
	s_and_b32 vcc_lo, exec_lo, s0
	v_add3_u32 v2, v6, v2, v4
	s_cbranch_vccnz .LBB0_9
; %bb.7:                                ;   in Loop: Header=BB0_2 Depth=1
	v_mov_b32_e32 v5, v7
	v_mov_b32_e32 v6, v8
	s_branch .LBB0_2
.LBB0_8:
	v_mov_b32_e32 v8, v6
	v_mov_b32_e32 v7, v5
.LBB0_9:
	s_lshl_b64 s[0:1], s[10:11], 3
	v_mul_hi_u32 v3, 0x15ac057, v0
	s_add_u32 s0, s12, s0
	s_addc_u32 s1, s13, s1
	v_mov_b32_e32 v38, 0
	s_load_dwordx2 s[0:1], s[0:1], 0x0
	s_load_dwordx2 s[4:5], s[4:5], 0x20
                                        ; implicit-def: $vgpr26_vgpr27
                                        ; implicit-def: $vgpr34_vgpr35
                                        ; implicit-def: $vgpr30_vgpr31
                                        ; implicit-def: $vgpr14_vgpr15
                                        ; implicit-def: $vgpr10_vgpr11
                                        ; implicit-def: $vgpr22_vgpr23
                                        ; implicit-def: $vgpr18_vgpr19
	v_mul_u32_u24_e32 v3, 0xbd, v3
	v_sub_nc_u32_e32 v39, v0, v3
	s_waitcnt lgkmcnt(0)
	v_mul_lo_u32 v4, s0, v8
	v_mul_lo_u32 v5, s1, v7
	v_mad_u64_u32 v[1:2], null, s0, v7, v[1:2]
	v_cmp_gt_u64_e32 vcc_lo, s[4:5], v[7:8]
                                        ; implicit-def: $vgpr6_vgpr7
	v_add3_u32 v2, v5, v2, v4
	v_lshlrev_b64 v[36:37], 4, v[1:2]
                                        ; implicit-def: $vgpr2_vgpr3
	s_and_saveexec_b32 s1, vcc_lo
	s_cbranch_execz .LBB0_13
; %bb.10:
	v_mov_b32_e32 v40, 0
	v_add_co_u32 v2, s0, s2, v36
	v_add_co_ci_u32_e64 v3, s0, s3, v37, s0
	v_lshlrev_b64 v[0:1], 4, v[39:40]
	s_mov_b32 s4, exec_lo
                                        ; implicit-def: $vgpr28_vgpr29
                                        ; implicit-def: $vgpr32_vgpr33
	v_add_co_u32 v26, s0, v2, v0
	v_add_co_ci_u32_e64 v27, s0, v3, v1, s0
	v_add_co_u32 v0, s0, 0x1800, v26
	v_add_co_ci_u32_e64 v1, s0, 0, v27, s0
	v_add_co_u32 v34, s0, 0x3000, v26
	v_add_co_ci_u32_e64 v35, s0, 0, v27, s0
	v_add_co_u32 v2, s0, 0x800, v26
	v_add_co_ci_u32_e64 v3, s0, 0, v27, s0
	v_add_co_u32 v12, s0, 0x2000, v26
	v_add_co_ci_u32_e64 v13, s0, 0, v27, s0
	v_add_co_u32 v24, s0, 0x4000, v26
	v_add_co_ci_u32_e64 v25, s0, 0, v27, s0
	s_clause 0x5
	global_load_dwordx4 v[16:19], v[26:27], off
	global_load_dwordx4 v[20:23], v[0:1], off offset:912
	global_load_dwordx4 v[4:7], v[34:35], off offset:1824
	;; [unrolled: 1-line block ×5, first 2 shown]
                                        ; implicit-def: $vgpr24_vgpr25
	v_cmpx_gt_u32_e32 63, v39
; %bb.11:
	v_add_co_u32 v24, s0, 0x1000, v26
	v_add_co_ci_u32_e64 v25, s0, 0, v27, s0
	v_add_co_u32 v26, s0, 0x4800, v26
	v_add_co_ci_u32_e64 v27, s0, 0, v27, s0
	s_clause 0x2
	global_load_dwordx4 v[28:31], v[24:25], off offset:1952
	global_load_dwordx4 v[32:35], v[34:35], off offset:816
	;; [unrolled: 1-line block ×3, first 2 shown]
; %bb.12:
	s_or_b32 exec_lo, exec_lo, s4
	v_mov_b32_e32 v38, v39
.LBB0_13:
	s_or_b32 exec_lo, exec_lo, s1
	s_waitcnt vmcnt(3)
	v_add_f64 v[40:41], v[4:5], v[20:21]
	v_add_f64 v[42:43], v[6:7], v[22:23]
	s_waitcnt vmcnt(0)
	v_add_f64 v[44:45], v[0:1], v[12:13]
	v_add_f64 v[46:47], v[2:3], v[14:15]
	;; [unrolled: 1-line block ×10, first 2 shown]
	v_add_f64 v[22:23], v[22:23], -v[6:7]
	v_add_f64 v[14:15], v[14:15], -v[2:3]
	;; [unrolled: 1-line block ×4, first 2 shown]
	s_mov_b32 s0, 0xe8584caa
	s_mov_b32 s1, 0x3febb67a
	;; [unrolled: 1-line block ×4, first 2 shown]
	v_fma_f64 v[16:17], v[40:41], -0.5, v[16:17]
	v_add_f64 v[40:41], v[20:21], -v[4:5]
	v_fma_f64 v[18:19], v[42:43], -0.5, v[18:19]
	v_fma_f64 v[42:43], v[44:45], -0.5, v[8:9]
	;; [unrolled: 1-line block ×3, first 2 shown]
	v_add_f64 v[46:47], v[34:35], -v[26:27]
	v_fma_f64 v[48:49], v[48:49], -0.5, v[28:29]
	v_fma_f64 v[50:51], v[50:51], -0.5, v[30:31]
	v_add_f64 v[4:5], v[4:5], v[52:53]
	v_add_f64 v[6:7], v[6:7], v[54:55]
	;; [unrolled: 1-line block ×6, first 2 shown]
	v_fma_f64 v[20:21], v[22:23], s[0:1], v[16:17]
	v_fma_f64 v[24:25], v[22:23], s[4:5], v[16:17]
	;; [unrolled: 1-line block ×12, first 2 shown]
	v_mad_u32_u24 v40, v39, 48, 0
	v_cmp_gt_u32_e64 s0, 63, v39
	ds_write_b128 v40, v[4:7]
	ds_write_b128 v40, v[8:11] offset:9072
	ds_write_b128 v40, v[20:23] offset:16
	;; [unrolled: 1-line block ×5, first 2 shown]
	s_and_saveexec_b32 s1, s0
	s_cbranch_execz .LBB0_15
; %bb.14:
	ds_write_b128 v40, v[0:3] offset:18144
	ds_write_b128 v40, v[12:15] offset:18160
	;; [unrolled: 1-line block ×3, first 2 shown]
.LBB0_15:
	s_or_b32 exec_lo, exec_lo, s1
	v_lshlrev_b32_e32 v41, 5, v39
	s_waitcnt lgkmcnt(0)
	s_barrier
	buffer_gl0_inv
	v_sub_nc_u32_e32 v20, v40, v41
	v_sub_nc_u32_e32 v41, 0, v41
	ds_read_b128 v[8:11], v20
	ds_read_b128 v[4:7], v20 offset:3024
	ds_read_b128 v[32:35], v20 offset:7056
	;; [unrolled: 1-line block ×5, first 2 shown]
	v_add_nc_u32_e32 v40, v40, v41
	s_and_saveexec_b32 s1, s0
	s_cbranch_execz .LBB0_17
; %bb.16:
	ds_read_b128 v[0:3], v40 offset:6048
	ds_read_b128 v[12:15], v40 offset:13104
	;; [unrolled: 1-line block ×3, first 2 shown]
.LBB0_17:
	s_or_b32 exec_lo, exec_lo, s1
	v_and_b32_e32 v42, 0xff, v39
	v_mov_b32_e32 v58, 5
	v_add_nc_u32_e32 v44, 0xbd, v39
	v_mov_b32_e32 v45, 0xaaab
	s_mov_b32 s4, 0xe8584caa
	v_mul_lo_u16 v41, 0xab, v42
	s_mov_b32 s5, 0x3febb67a
	s_mov_b32 s7, 0xbfebb67a
	v_mul_u32_u24_sdwa v43, v44, v45 dst_sel:DWORD dst_unused:UNUSED_PAD src0_sel:WORD_0 src1_sel:DWORD
	s_mov_b32 s6, s4
	v_lshrrev_b16 v74, 9, v41
	v_mov_b32_e32 v78, 0x90
	v_lshrrev_b32_e32 v76, 17, v43
	v_add_nc_u32_e32 v43, 0x17a, v39
	v_mul_lo_u16 v41, v74, 3
	v_mul_lo_u16 v50, v76, 3
	v_mul_u32_u24_sdwa v45, v43, v45 dst_sel:DWORD dst_unused:UNUSED_PAD src0_sel:WORD_0 src1_sel:DWORD
	v_sub_nc_u16 v75, v39, v41
	v_sub_nc_u16 v77, v44, v50
	v_lshlrev_b32_sdwa v41, v58, v75 dst_sel:DWORD dst_unused:UNUSED_PAD src0_sel:DWORD src1_sel:BYTE_0
	v_lshlrev_b32_sdwa v59, v58, v77 dst_sel:DWORD dst_unused:UNUSED_PAD src0_sel:DWORD src1_sel:WORD_0
	s_clause 0x1
	global_load_dwordx4 v[46:49], v41, s[8:9]
	global_load_dwordx4 v[50:53], v41, s[8:9] offset:16
	v_lshrrev_b32_e32 v41, 17, v45
	global_load_dwordx4 v[54:57], v59, s[8:9]
	v_mul_lo_u16 v45, v41, 3
	v_sub_nc_u16 v45, v43, v45
	v_lshlrev_b32_sdwa v66, v58, v45 dst_sel:DWORD dst_unused:UNUSED_PAD src0_sel:DWORD src1_sel:WORD_0
	s_clause 0x2
	global_load_dwordx4 v[58:61], v59, s[8:9] offset:16
	global_load_dwordx4 v[62:65], v66, s[8:9]
	global_load_dwordx4 v[66:69], v66, s[8:9] offset:16
	s_waitcnt vmcnt(0) lgkmcnt(0)
	s_barrier
	buffer_gl0_inv
	v_mul_f64 v[70:71], v[34:35], v[48:49]
	v_mul_f64 v[48:49], v[32:33], v[48:49]
	v_fma_f64 v[32:33], v[32:33], v[46:47], -v[70:71]
	v_fma_f64 v[34:35], v[34:35], v[46:47], v[48:49]
	v_mul_f64 v[46:47], v[30:31], v[52:53]
	v_mul_f64 v[48:49], v[28:29], v[52:53]
	v_mul_f64 v[52:53], v[26:27], v[56:57]
	v_mul_f64 v[56:57], v[24:25], v[56:57]
	v_fma_f64 v[28:29], v[28:29], v[50:51], -v[46:47]
	v_fma_f64 v[30:31], v[30:31], v[50:51], v[48:49]
	v_mul_f64 v[46:47], v[22:23], v[60:61]
	v_mul_f64 v[48:49], v[20:21], v[60:61]
	;; [unrolled: 6-line block ×3, first 2 shown]
	v_fma_f64 v[46:47], v[20:21], v[58:59], -v[46:47]
	v_fma_f64 v[20:21], v[22:23], v[58:59], v[48:49]
	v_fma_f64 v[12:13], v[12:13], v[62:63], -v[50:51]
	v_fma_f64 v[22:23], v[16:17], v[66:67], -v[60:61]
	v_add_f64 v[16:17], v[32:33], v[28:29]
	v_add_f64 v[58:59], v[8:9], v[32:33]
	v_fma_f64 v[14:15], v[14:15], v[62:63], v[52:53]
	v_fma_f64 v[48:49], v[18:19], v[66:67], v[54:55]
	v_add_f64 v[18:19], v[34:35], v[30:31]
	v_add_f64 v[60:61], v[10:11], v[34:35]
	;; [unrolled: 1-line block ×4, first 2 shown]
	v_add_f64 v[34:35], v[34:35], -v[30:31]
	v_add_f64 v[32:33], v[32:33], -v[28:29]
	v_add_f64 v[50:51], v[24:25], v[46:47]
	v_add_f64 v[52:53], v[26:27], v[20:21]
	v_add_f64 v[66:67], v[0:1], v[12:13]
	v_add_f64 v[54:55], v[12:13], v[22:23]
	v_fma_f64 v[8:9], v[16:17], -0.5, v[8:9]
	v_add_f64 v[70:71], v[26:27], -v[20:21]
	v_add_f64 v[68:69], v[2:3], v[14:15]
	v_add_f64 v[56:57], v[14:15], v[48:49]
	v_fma_f64 v[10:11], v[18:19], -0.5, v[10:11]
	v_add_f64 v[72:73], v[12:13], -v[22:23]
	v_add_f64 v[17:18], v[62:63], v[46:47]
	v_add_f64 v[19:20], v[64:65], v[20:21]
	v_mov_b32_e32 v12, 4
	v_fma_f64 v[4:5], v[50:51], -0.5, v[4:5]
	v_add_f64 v[50:51], v[24:25], -v[46:47]
	v_fma_f64 v[6:7], v[52:53], -0.5, v[6:7]
	v_add_f64 v[52:53], v[14:15], -v[48:49]
	v_fma_f64 v[54:55], v[54:55], -0.5, v[0:1]
	v_add_f64 v[15:16], v[60:61], v[30:31]
	v_add_f64 v[13:14], v[58:59], v[28:29]
	v_fma_f64 v[56:57], v[56:57], -0.5, v[2:3]
	v_add_f64 v[0:1], v[66:67], v[22:23]
	v_add_f64 v[2:3], v[68:69], v[48:49]
	v_fma_f64 v[21:22], v[34:35], s[4:5], v[8:9]
	v_fma_f64 v[25:26], v[34:35], s[6:7], v[8:9]
	;; [unrolled: 1-line block ×4, first 2 shown]
	v_mul_u32_u24_sdwa v33, v74, v78 dst_sel:DWORD dst_unused:UNUSED_PAD src0_sel:WORD_0 src1_sel:DWORD
	v_lshlrev_b32_sdwa v34, v12, v75 dst_sel:DWORD dst_unused:UNUSED_PAD src0_sel:DWORD src1_sel:BYTE_0
	v_mul_u32_u24_e32 v35, 0x90, v76
	v_add3_u32 v33, 0, v33, v34
	v_fma_f64 v[29:30], v[70:71], s[4:5], v[4:5]
	v_fma_f64 v[46:47], v[70:71], s[6:7], v[4:5]
	v_fma_f64 v[31:32], v[50:51], s[6:7], v[6:7]
	v_fma_f64 v[48:49], v[50:51], s[4:5], v[6:7]
	v_fma_f64 v[4:5], v[52:53], s[4:5], v[54:55]
	v_fma_f64 v[8:9], v[52:53], s[6:7], v[54:55]
	v_lshlrev_b32_sdwa v50, v12, v77 dst_sel:DWORD dst_unused:UNUSED_PAD src0_sel:DWORD src1_sel:WORD_0
	v_fma_f64 v[6:7], v[72:73], s[6:7], v[56:57]
	v_fma_f64 v[10:11], v[72:73], s[4:5], v[56:57]
	v_add3_u32 v34, 0, v35, v50
	ds_write_b128 v33, v[13:16]
	ds_write_b128 v33, v[21:24] offset:48
	ds_write_b128 v33, v[25:28] offset:96
	ds_write_b128 v34, v[17:20]
	ds_write_b128 v34, v[29:32] offset:48
	ds_write_b128 v34, v[46:49] offset:96
	s_and_saveexec_b32 s1, s0
	s_cbranch_execz .LBB0_19
; %bb.18:
	v_mul_lo_u16 v13, v41, 9
	v_lshlrev_b32_sdwa v14, v12, v45 dst_sel:DWORD dst_unused:UNUSED_PAD src0_sel:DWORD src1_sel:WORD_0
	v_lshlrev_b32_sdwa v12, v12, v13 dst_sel:DWORD dst_unused:UNUSED_PAD src0_sel:DWORD src1_sel:WORD_0
	v_add3_u32 v12, 0, v14, v12
	ds_write_b128 v12, v[0:3]
	ds_write_b128 v12, v[4:7] offset:48
	ds_write_b128 v12, v[8:11] offset:96
.LBB0_19:
	s_or_b32 exec_lo, exec_lo, s1
	s_waitcnt lgkmcnt(0)
	s_barrier
	buffer_gl0_inv
	ds_read_b128 v[16:19], v40
	ds_read_b128 v[12:15], v40 offset:3024
	ds_read_b128 v[28:31], v40 offset:7056
	;; [unrolled: 1-line block ×5, first 2 shown]
	v_lshl_add_u32 v41, v39, 4, 0
	s_and_saveexec_b32 s1, s0
	s_cbranch_execz .LBB0_21
; %bb.20:
	ds_read_b128 v[0:3], v41 offset:6048
	ds_read_b128 v[4:7], v40 offset:13104
	;; [unrolled: 1-line block ×3, first 2 shown]
.LBB0_21:
	s_or_b32 exec_lo, exec_lo, s1
	v_mov_b32_e32 v45, 0xe38f
	v_mul_lo_u16 v46, v42, 57
	s_mov_b32 s6, s4
	v_mul_u32_u24_sdwa v47, v44, v45 dst_sel:DWORD dst_unused:UNUSED_PAD src0_sel:WORD_0 src1_sel:DWORD
	v_lshrrev_b16 v71, 9, v46
	v_mov_b32_e32 v46, 5
	v_lshrrev_b32_e32 v72, 19, v47
	v_mul_lo_u16 v47, v71, 9
	v_mul_lo_u16 v48, v72, 9
	v_sub_nc_u16 v73, v39, v47
	v_sub_nc_u16 v44, v44, v48
	v_lshlrev_b32_sdwa v51, v46, v73 dst_sel:DWORD dst_unused:UNUSED_PAD src0_sel:DWORD src1_sel:BYTE_0
	v_lshlrev_b32_sdwa v59, v46, v44 dst_sel:DWORD dst_unused:UNUSED_PAD src0_sel:DWORD src1_sel:WORD_0
	s_clause 0x3
	global_load_dwordx4 v[47:50], v51, s[8:9] offset:96
	global_load_dwordx4 v[51:54], v51, s[8:9] offset:112
	;; [unrolled: 1-line block ×4, first 2 shown]
	s_waitcnt vmcnt(0) lgkmcnt(0)
	s_barrier
	buffer_gl0_inv
	v_mul_f64 v[63:64], v[30:31], v[49:50]
	v_mul_f64 v[65:66], v[34:35], v[53:54]
	;; [unrolled: 1-line block ×8, first 2 shown]
	v_fma_f64 v[28:29], v[28:29], v[47:48], -v[63:64]
	v_fma_f64 v[32:33], v[32:33], v[51:52], -v[65:66]
	v_fma_f64 v[30:31], v[30:31], v[47:48], v[49:50]
	v_fma_f64 v[34:35], v[34:35], v[51:52], v[53:54]
	v_fma_f64 v[20:21], v[20:21], v[55:56], -v[67:68]
	v_fma_f64 v[24:25], v[24:25], v[59:60], -v[69:70]
	v_fma_f64 v[22:23], v[22:23], v[55:56], v[57:58]
	v_fma_f64 v[26:27], v[26:27], v[59:60], v[61:62]
	v_add_f64 v[55:56], v[16:17], v[28:29]
	v_add_f64 v[47:48], v[28:29], v[32:33]
	v_add_f64 v[28:29], v[28:29], -v[32:33]
	v_add_f64 v[49:50], v[30:31], v[34:35]
	v_add_f64 v[57:58], v[30:31], -v[34:35]
	v_add_f64 v[51:52], v[20:21], v[24:25]
	v_add_f64 v[30:31], v[18:19], v[30:31]
	;; [unrolled: 1-line block ×5, first 2 shown]
	v_add_f64 v[63:64], v[22:23], -v[26:27]
	v_add_f64 v[65:66], v[20:21], -v[24:25]
	v_fma_f64 v[47:48], v[47:48], -0.5, v[16:17]
	v_fma_f64 v[49:50], v[49:50], -0.5, v[18:19]
	;; [unrolled: 1-line block ×3, first 2 shown]
	v_mov_b32_e32 v12, 4
	v_fma_f64 v[53:54], v[53:54], -0.5, v[14:15]
	v_add_f64 v[13:14], v[55:56], v[32:33]
	v_add_f64 v[15:16], v[30:31], v[34:35]
	;; [unrolled: 1-line block ×4, first 2 shown]
	v_mov_b32_e32 v33, 0x1b0
	v_lshlrev_b32_sdwa v34, v12, v73 dst_sel:DWORD dst_unused:UNUSED_PAD src0_sel:DWORD src1_sel:BYTE_0
	v_mul_u32_u24_e32 v35, 0x1b0, v72
	v_lshlrev_b32_sdwa v44, v12, v44 dst_sel:DWORD dst_unused:UNUSED_PAD src0_sel:DWORD src1_sel:WORD_0
	v_mul_u32_u24_sdwa v33, v71, v33 dst_sel:DWORD dst_unused:UNUSED_PAD src0_sel:WORD_0 src1_sel:DWORD
	v_add3_u32 v33, 0, v33, v34
	v_fma_f64 v[21:22], v[57:58], s[4:5], v[47:48]
	v_fma_f64 v[25:26], v[57:58], s[6:7], v[47:48]
	;; [unrolled: 1-line block ×8, first 2 shown]
	v_add3_u32 v34, 0, v35, v44
	ds_write_b128 v33, v[13:16]
	ds_write_b128 v33, v[21:24] offset:144
	ds_write_b128 v33, v[25:28] offset:288
	ds_write_b128 v34, v[17:20]
	ds_write_b128 v34, v[29:32] offset:144
	ds_write_b128 v34, v[47:50] offset:288
	s_and_saveexec_b32 s1, s0
	s_cbranch_execz .LBB0_23
; %bb.22:
	v_mul_u32_u24_sdwa v13, v43, v45 dst_sel:DWORD dst_unused:UNUSED_PAD src0_sel:WORD_0 src1_sel:DWORD
	v_lshrrev_b32_e32 v25, 19, v13
	v_mul_lo_u16 v13, v25, 9
	v_sub_nc_u16 v26, v43, v13
	v_lshlrev_b32_sdwa v17, v46, v26 dst_sel:DWORD dst_unused:UNUSED_PAD src0_sel:DWORD src1_sel:WORD_0
	s_clause 0x1
	global_load_dwordx4 v[13:16], v17, s[8:9] offset:96
	global_load_dwordx4 v[17:20], v17, s[8:9] offset:112
	s_waitcnt vmcnt(1)
	v_mul_f64 v[21:22], v[4:5], v[15:16]
	s_waitcnt vmcnt(0)
	v_mul_f64 v[23:24], v[8:9], v[19:20]
	v_mul_f64 v[15:16], v[6:7], v[15:16]
	;; [unrolled: 1-line block ×3, first 2 shown]
	v_fma_f64 v[6:7], v[6:7], v[13:14], v[21:22]
	v_fma_f64 v[10:11], v[10:11], v[17:18], v[23:24]
	v_fma_f64 v[4:5], v[4:5], v[13:14], -v[15:16]
	v_fma_f64 v[8:9], v[8:9], v[17:18], -v[19:20]
	v_add_f64 v[19:20], v[2:3], v[6:7]
	v_add_f64 v[13:14], v[6:7], v[10:11]
	v_add_f64 v[21:22], v[6:7], -v[10:11]
	v_add_f64 v[15:16], v[4:5], v[8:9]
	v_add_f64 v[17:18], v[4:5], -v[8:9]
	v_add_f64 v[4:5], v[0:1], v[4:5]
	v_fma_f64 v[13:14], v[13:14], -0.5, v[2:3]
	v_add_f64 v[2:3], v[19:20], v[10:11]
	v_fma_f64 v[15:16], v[15:16], -0.5, v[0:1]
	v_add_f64 v[0:1], v[4:5], v[8:9]
	v_fma_f64 v[10:11], v[17:18], s[6:7], v[13:14]
	v_fma_f64 v[6:7], v[17:18], s[4:5], v[13:14]
	;; [unrolled: 1-line block ×4, first 2 shown]
	v_mul_lo_u16 v13, v25, 27
	v_lshlrev_b32_sdwa v14, v12, v26 dst_sel:DWORD dst_unused:UNUSED_PAD src0_sel:DWORD src1_sel:WORD_0
	v_lshlrev_b32_sdwa v13, v12, v13 dst_sel:DWORD dst_unused:UNUSED_PAD src0_sel:DWORD src1_sel:WORD_0
	v_add3_u32 v13, 0, v14, v13
	ds_write_b128 v13, v[0:3]
	ds_write_b128 v13, v[8:11] offset:144
	ds_write_b128 v13, v[4:7] offset:288
.LBB0_23:
	s_or_b32 exec_lo, exec_lo, s1
	v_mul_lo_u16 v0, v42, 19
	v_mov_b32_e32 v1, 6
	s_waitcnt lgkmcnt(0)
	s_barrier
	buffer_gl0_inv
	v_lshrrev_b16 v35, 9, v0
	s_mov_b32 s6, 0x37e14327
	s_mov_b32 s14, 0xe976ee23
	;; [unrolled: 1-line block ×4, first 2 shown]
	v_mul_lo_u16 v0, v35, 27
	s_mov_b32 s4, 0x429ad128
	s_mov_b32 s0, 0x36b3c0b5
	;; [unrolled: 1-line block ×4, first 2 shown]
	v_sub_nc_u16 v68, v39, v0
	s_mov_b32 s10, 0xaaaaaaaa
	s_mov_b32 s22, 0xb247c609
	;; [unrolled: 1-line block ×4, first 2 shown]
	v_mul_u32_u24_sdwa v0, v68, v1 dst_sel:DWORD dst_unused:UNUSED_PAD src0_sel:BYTE_0 src1_sel:DWORD
	s_mov_b32 s23, 0x3fd5d0dc
	s_mov_b32 s13, 0x3fe77f67
	;; [unrolled: 1-line block ×4, first 2 shown]
	v_lshlrev_b32_e32 v21, 4, v0
	s_mov_b32 s16, s12
	s_mov_b32 s20, s22
	;; [unrolled: 1-line block ×4, first 2 shown]
	s_clause 0x5
	global_load_dwordx4 v[0:3], v21, s[8:9] offset:384
	global_load_dwordx4 v[4:7], v21, s[8:9] offset:400
	;; [unrolled: 1-line block ×6, first 2 shown]
	ds_read_b128 v[25:28], v40 offset:3024
	ds_read_b128 v[29:32], v41 offset:6048
	;; [unrolled: 1-line block ×4, first 2 shown]
	ds_read_b128 v[50:53], v40
	ds_read_b128 v[54:57], v40 offset:9072
	ds_read_b128 v[58:61], v40 offset:12096
	v_lshlrev_b32_sdwa v12, v12, v68 dst_sel:DWORD dst_unused:UNUSED_PAD src0_sel:DWORD src1_sel:BYTE_0
	s_waitcnt vmcnt(0) lgkmcnt(0)
	s_barrier
	buffer_gl0_inv
	v_mul_f64 v[33:34], v[27:28], v[2:3]
	v_mul_f64 v[2:3], v[25:26], v[2:3]
	;; [unrolled: 1-line block ×8, first 2 shown]
	v_fma_f64 v[25:26], v[25:26], v[0:1], -v[33:34]
	v_fma_f64 v[0:1], v[27:28], v[0:1], v[2:3]
	v_mul_f64 v[2:3], v[56:57], v[19:20]
	v_mul_f64 v[19:20], v[54:55], v[19:20]
	;; [unrolled: 1-line block ×4, first 2 shown]
	v_fma_f64 v[29:30], v[29:30], v[4:5], -v[62:63]
	v_fma_f64 v[4:5], v[31:32], v[4:5], v[6:7]
	v_fma_f64 v[6:7], v[42:43], v[8:9], -v[64:65]
	v_fma_f64 v[8:9], v[44:45], v[8:9], v[10:11]
	;; [unrolled: 2-line block ×5, first 2 shown]
	v_add_f64 v[21:22], v[25:26], v[6:7]
	v_add_f64 v[23:24], v[0:1], v[8:9]
	;; [unrolled: 1-line block ×4, first 2 shown]
	v_add_f64 v[10:11], v[29:30], -v[10:11]
	v_add_f64 v[4:5], v[4:5], -v[13:14]
	;; [unrolled: 1-line block ×4, first 2 shown]
	v_add_f64 v[13:14], v[2:3], v[17:18]
	v_add_f64 v[29:30], v[15:16], v[19:20]
	v_add_f64 v[2:3], v[17:18], -v[2:3]
	v_add_f64 v[15:16], v[19:20], -v[15:16]
	v_add_f64 v[0:1], v[27:28], v[21:22]
	v_add_f64 v[17:18], v[31:32], v[23:24]
	v_add_f64 v[46:47], v[4:5], -v[8:9]
	v_add_f64 v[44:45], v[10:11], -v[6:7]
	;; [unrolled: 1-line block ×6, first 2 shown]
	v_add_f64 v[10:11], v[2:3], v[10:11]
	v_add_f64 v[4:5], v[15:16], v[4:5]
	;; [unrolled: 1-line block ×4, first 2 shown]
	v_add_f64 v[13:14], v[13:14], -v[27:28]
	v_add_f64 v[29:30], v[29:30], -v[31:32]
	;; [unrolled: 1-line block ×4, first 2 shown]
	v_mul_f64 v[56:57], v[44:45], s[4:5]
	v_mul_f64 v[58:59], v[46:47], s[4:5]
	v_add_f64 v[21:22], v[27:28], -v[21:22]
	v_add_f64 v[23:24], v[31:32], -v[23:24]
	v_mul_f64 v[19:20], v[19:20], s[6:7]
	v_mul_f64 v[25:26], v[25:26], s[6:7]
	;; [unrolled: 1-line block ×4, first 2 shown]
	v_add_f64 v[6:7], v[10:11], v[6:7]
	v_add_f64 v[4:5], v[4:5], v[8:9]
	v_add_f64 v[0:1], v[50:51], v[48:49]
	v_add_f64 v[2:3], v[52:53], v[17:18]
	v_mul_f64 v[27:28], v[13:14], s[0:1]
	v_mul_f64 v[31:32], v[29:30], s[0:1]
	v_fma_f64 v[8:9], v[13:14], s[0:1], v[19:20]
	v_fma_f64 v[10:11], v[29:30], s[0:1], v[25:26]
	;; [unrolled: 1-line block ×4, first 2 shown]
	v_fma_f64 v[42:43], v[46:47], s[4:5], -v[42:43]
	v_fma_f64 v[33:34], v[44:45], s[4:5], -v[33:34]
	v_fma_f64 v[46:47], v[48:49], s[10:11], v[0:1]
	v_fma_f64 v[17:18], v[17:18], s[10:11], v[2:3]
	v_fma_f64 v[44:45], v[54:55], s[20:21], -v[56:57]
	v_fma_f64 v[15:16], v[15:16], s[20:21], -v[58:59]
	;; [unrolled: 1-line block ×6, first 2 shown]
	v_fma_f64 v[27:28], v[6:7], s[18:19], v[13:14]
	v_fma_f64 v[29:30], v[4:5], s[18:19], v[29:30]
	;; [unrolled: 1-line block ×3, first 2 shown]
	v_add_f64 v[48:49], v[8:9], v[46:47]
	v_add_f64 v[50:51], v[10:11], v[17:18]
	v_fma_f64 v[33:34], v[4:5], s[18:19], v[42:43]
	v_fma_f64 v[42:43], v[6:7], s[18:19], v[44:45]
	;; [unrolled: 1-line block ×3, first 2 shown]
	v_add_f64 v[52:53], v[19:20], v[46:47]
	v_add_f64 v[25:26], v[25:26], v[17:18]
	v_add_f64 v[19:20], v[21:22], v[46:47]
	v_add_f64 v[21:22], v[23:24], v[17:18]
	v_add_f64 v[4:5], v[29:30], v[48:49]
	v_add_f64 v[6:7], v[50:51], -v[27:28]
	v_add_f64 v[27:28], v[27:28], v[50:51]
	v_add_f64 v[8:9], v[44:45], v[52:53]
	v_add_f64 v[10:11], v[25:26], -v[42:43]
	v_add_f64 v[13:14], v[19:20], -v[33:34]
	v_add_f64 v[15:16], v[31:32], v[21:22]
	v_add_f64 v[17:18], v[33:34], v[19:20]
	v_add_f64 v[19:20], v[21:22], -v[31:32]
	v_add_f64 v[21:22], v[52:53], -v[44:45]
	v_add_f64 v[23:24], v[42:43], v[25:26]
	v_add_f64 v[25:26], v[48:49], -v[29:30]
	v_mov_b32_e32 v29, 0xbd0
	v_mul_u32_u24_sdwa v29, v35, v29 dst_sel:DWORD dst_unused:UNUSED_PAD src0_sel:WORD_0 src1_sel:DWORD
	v_add3_u32 v12, 0, v29, v12
	ds_write_b128 v12, v[0:3]
	ds_write_b128 v12, v[4:7] offset:432
	ds_write_b128 v12, v[8:11] offset:864
	;; [unrolled: 1-line block ×6, first 2 shown]
	s_waitcnt lgkmcnt(0)
	s_barrier
	buffer_gl0_inv
	s_and_saveexec_b32 s24, vcc_lo
	s_cbranch_execz .LBB0_25
; %bb.24:
	v_mul_u32_u24_e32 v0, 6, v39
	v_lshlrev_b32_e32 v0, 4, v0
	v_add_co_u32 v4, s8, s8, v0
	v_add_co_ci_u32_e64 v5, null, s9, 0, s8
	v_add_co_u32 v20, vcc_lo, 0xba0, v4
	v_add_co_ci_u32_e32 v21, vcc_lo, 0, v5, vcc_lo
	v_add_co_u32 v8, vcc_lo, 0x800, v4
	v_add_co_ci_u32_e32 v9, vcc_lo, 0, v5, vcc_lo
	;; [unrolled: 2-line block ×3, first 2 shown]
	s_clause 0x5
	global_load_dwordx4 v[0:3], v[20:21], off offset:16
	global_load_dwordx4 v[4:7], v[8:9], off offset:992
	;; [unrolled: 1-line block ×6, first 2 shown]
	ds_read_b128 v[24:27], v41 offset:6048
	ds_read_b128 v[28:31], v40 offset:15120
	;; [unrolled: 1-line block ×6, first 2 shown]
	ds_read_b128 v[53:56], v40
	s_waitcnt vmcnt(4) lgkmcnt(5)
	v_mul_f64 v[39:40], v[6:7], v[30:31]
	v_mul_f64 v[30:31], v[4:5], v[30:31]
	s_waitcnt vmcnt(3) lgkmcnt(4)
	v_mul_f64 v[59:60], v[8:9], v[34:35]
	v_mul_f64 v[57:58], v[2:3], v[26:27]
	v_mul_f64 v[26:27], v[0:1], v[26:27]
	s_waitcnt vmcnt(2) lgkmcnt(3)
	v_mul_f64 v[61:62], v[12:13], v[43:44]
	;; [unrolled: 4-line block ×3, first 2 shown]
	s_waitcnt vmcnt(0) lgkmcnt(1)
	v_mul_f64 v[65:66], v[22:23], v[51:52]
	v_fma_f64 v[4:5], v[4:5], v[28:29], -v[39:40]
	v_fma_f64 v[6:7], v[28:29], v[6:7], v[30:31]
	v_fma_f64 v[10:11], v[32:33], v[10:11], v[59:60]
	v_fma_f64 v[0:1], v[0:1], v[24:25], -v[57:58]
	v_fma_f64 v[2:3], v[24:25], v[2:3], v[26:27]
	v_mul_f64 v[24:25], v[20:21], v[51:52]
	v_mul_f64 v[26:27], v[16:17], v[47:48]
	v_fma_f64 v[14:15], v[41:42], v[14:15], v[61:62]
	v_fma_f64 v[8:9], v[8:9], v[32:33], -v[34:35]
	v_fma_f64 v[12:13], v[12:13], v[41:42], -v[43:44]
	;; [unrolled: 1-line block ×4, first 2 shown]
	v_add_f64 v[28:29], v[0:1], v[4:5]
	v_add_f64 v[0:1], v[0:1], -v[4:5]
	v_fma_f64 v[22:23], v[49:50], v[22:23], v[24:25]
	v_fma_f64 v[18:19], v[45:46], v[18:19], v[26:27]
	v_add_f64 v[24:25], v[2:3], v[6:7]
	v_add_f64 v[26:27], v[10:11], v[14:15]
	;; [unrolled: 1-line block ×3, first 2 shown]
	v_add_f64 v[2:3], v[2:3], -v[6:7]
	v_add_f64 v[32:33], v[16:17], -v[20:21]
	v_add_f64 v[16:17], v[16:17], v[20:21]
	v_add_f64 v[6:7], v[8:9], -v[12:13]
	v_add_f64 v[10:11], v[10:11], -v[14:15]
	v_add_f64 v[4:5], v[18:19], v[22:23]
	v_add_f64 v[18:19], v[18:19], -v[22:23]
	v_add_f64 v[8:9], v[24:25], v[26:27]
	v_add_f64 v[12:13], v[28:29], v[30:31]
	v_add_f64 v[14:15], v[32:33], -v[0:1]
	v_add_f64 v[22:23], v[30:31], -v[16:17]
	;; [unrolled: 1-line block ×4, first 2 shown]
	v_add_f64 v[43:44], v[32:33], v[0:1]
	v_add_f64 v[32:33], v[6:7], -v[32:33]
	v_add_f64 v[20:21], v[26:27], -v[4:5]
	;; [unrolled: 1-line block ×3, first 2 shown]
	v_add_f64 v[8:9], v[4:5], v[8:9]
	v_add_f64 v[12:13], v[16:17], v[12:13]
	v_add_f64 v[4:5], v[4:5], -v[24:25]
	v_add_f64 v[16:17], v[16:17], -v[28:29]
	v_add_f64 v[45:46], v[18:19], v[2:3]
	v_add_f64 v[18:19], v[10:11], -v[18:19]
	v_mul_f64 v[14:15], v[14:15], s[14:15]
	v_mul_f64 v[22:23], v[22:23], s[6:7]
	;; [unrolled: 1-line block ×3, first 2 shown]
	v_add_f64 v[24:25], v[24:25], -v[26:27]
	v_mul_f64 v[49:50], v[41:42], s[4:5]
	v_add_f64 v[28:29], v[28:29], -v[30:31]
	v_add_f64 v[6:7], v[43:44], v[6:7]
	v_mul_f64 v[20:21], v[20:21], s[6:7]
	v_mul_f64 v[34:35], v[34:35], s[14:15]
	s_waitcnt lgkmcnt(0)
	v_add_f64 v[2:3], v[55:56], v[8:9]
	v_add_f64 v[0:1], v[53:54], v[12:13]
	v_mul_f64 v[26:27], v[4:5], s[0:1]
	v_mul_f64 v[30:31], v[16:17], s[0:1]
	v_add_f64 v[10:11], v[45:46], v[10:11]
	v_fma_f64 v[43:44], v[32:33], s[22:23], v[14:15]
	v_fma_f64 v[16:17], v[16:17], s[0:1], v[22:23]
	v_fma_f64 v[32:33], v[32:33], s[20:21], -v[47:48]
	v_fma_f64 v[14:15], v[39:40], s[4:5], -v[14:15]
	v_mov_b32_e32 v39, 0
	v_fma_f64 v[22:23], v[28:29], s[16:17], -v[22:23]
	v_add_co_u32 v47, vcc_lo, s2, v36
	v_add_co_ci_u32_e32 v48, vcc_lo, s3, v37, vcc_lo
	v_fma_f64 v[4:5], v[4:5], s[0:1], v[20:21]
	v_fma_f64 v[45:46], v[18:19], s[22:23], v[34:35]
	;; [unrolled: 1-line block ×4, first 2 shown]
	v_fma_f64 v[20:21], v[24:25], s[16:17], -v[20:21]
	v_fma_f64 v[18:19], v[18:19], s[20:21], -v[49:50]
	;; [unrolled: 1-line block ×5, first 2 shown]
	v_fma_f64 v[30:31], v[6:7], s[18:19], v[43:44]
	v_fma_f64 v[32:33], v[6:7], s[18:19], v[32:33]
	v_fma_f64 v[36:37], v[6:7], s[18:19], v[14:15]
	v_fma_f64 v[34:35], v[10:11], s[18:19], v[45:46]
	v_add_f64 v[40:41], v[4:5], v[8:9]
	v_add_f64 v[16:17], v[16:17], v[12:13]
	;; [unrolled: 1-line block ×3, first 2 shown]
	v_lshlrev_b64 v[4:5], 4, v[38:39]
	v_fma_f64 v[38:39], v[10:11], s[18:19], v[18:19]
	v_add_f64 v[44:45], v[22:23], v[12:13]
	v_add_f64 v[8:9], v[24:25], v[8:9]
	v_fma_f64 v[42:43], v[10:11], s[18:19], v[26:27]
	v_add_f64 v[12:13], v[28:29], v[12:13]
	v_add_co_u32 v28, vcc_lo, v47, v4
	v_add_co_ci_u32_e32 v29, vcc_lo, v48, v5, vcc_lo
	v_add_co_u32 v46, vcc_lo, 0x800, v28
	v_add_co_ci_u32_e32 v47, vcc_lo, 0, v29, vcc_lo
	;; [unrolled: 2-line block ×3, first 2 shown]
	v_add_f64 v[26:27], v[40:41], -v[30:31]
	v_add_f64 v[24:25], v[34:35], v[16:17]
	v_add_f64 v[10:11], v[32:33], v[20:21]
	v_add_f64 v[22:23], v[20:21], -v[32:33]
	v_add_f64 v[4:5], v[16:17], -v[34:35]
	v_add_f64 v[20:21], v[38:39], v[44:45]
	v_add_f64 v[18:19], v[36:37], v[8:9]
	v_add_f64 v[14:15], v[8:9], -v[36:37]
	v_add_f64 v[16:17], v[12:13], -v[42:43]
	v_add_f64 v[12:13], v[42:43], v[12:13]
	v_add_f64 v[8:9], v[44:45], -v[38:39]
	v_add_f64 v[6:7], v[30:31], v[40:41]
	v_add_co_u32 v30, vcc_lo, 0x2000, v28
	v_add_co_ci_u32_e32 v31, vcc_lo, 0, v29, vcc_lo
	v_add_co_u32 v32, vcc_lo, 0x2800, v28
	v_add_co_ci_u32_e32 v33, vcc_lo, 0, v29, vcc_lo
	;; [unrolled: 2-line block ×4, first 2 shown]
	global_store_dwordx4 v[28:29], v[0:3], off
	global_store_dwordx4 v[46:47], v[24:27], off offset:976
	global_store_dwordx4 v[48:49], v[20:23], off offset:1952
	;; [unrolled: 1-line block ×6, first 2 shown]
.LBB0_25:
	s_endpgm
	.section	.rodata,"a",@progbits
	.p2align	6, 0x0
	.amdhsa_kernel fft_rtc_fwd_len1323_factors_3_3_3_7_7_wgs_189_tpt_189_dp_ip_CI_unitstride_sbrr_dirReg
		.amdhsa_group_segment_fixed_size 0
		.amdhsa_private_segment_fixed_size 0
		.amdhsa_kernarg_size 88
		.amdhsa_user_sgpr_count 6
		.amdhsa_user_sgpr_private_segment_buffer 1
		.amdhsa_user_sgpr_dispatch_ptr 0
		.amdhsa_user_sgpr_queue_ptr 0
		.amdhsa_user_sgpr_kernarg_segment_ptr 1
		.amdhsa_user_sgpr_dispatch_id 0
		.amdhsa_user_sgpr_flat_scratch_init 0
		.amdhsa_user_sgpr_private_segment_size 0
		.amdhsa_wavefront_size32 1
		.amdhsa_uses_dynamic_stack 0
		.amdhsa_system_sgpr_private_segment_wavefront_offset 0
		.amdhsa_system_sgpr_workgroup_id_x 1
		.amdhsa_system_sgpr_workgroup_id_y 0
		.amdhsa_system_sgpr_workgroup_id_z 0
		.amdhsa_system_sgpr_workgroup_info 0
		.amdhsa_system_vgpr_workitem_id 0
		.amdhsa_next_free_vgpr 79
		.amdhsa_next_free_sgpr 25
		.amdhsa_reserve_vcc 1
		.amdhsa_reserve_flat_scratch 0
		.amdhsa_float_round_mode_32 0
		.amdhsa_float_round_mode_16_64 0
		.amdhsa_float_denorm_mode_32 3
		.amdhsa_float_denorm_mode_16_64 3
		.amdhsa_dx10_clamp 1
		.amdhsa_ieee_mode 1
		.amdhsa_fp16_overflow 0
		.amdhsa_workgroup_processor_mode 1
		.amdhsa_memory_ordered 1
		.amdhsa_forward_progress 0
		.amdhsa_shared_vgpr_count 0
		.amdhsa_exception_fp_ieee_invalid_op 0
		.amdhsa_exception_fp_denorm_src 0
		.amdhsa_exception_fp_ieee_div_zero 0
		.amdhsa_exception_fp_ieee_overflow 0
		.amdhsa_exception_fp_ieee_underflow 0
		.amdhsa_exception_fp_ieee_inexact 0
		.amdhsa_exception_int_div_zero 0
	.end_amdhsa_kernel
	.text
.Lfunc_end0:
	.size	fft_rtc_fwd_len1323_factors_3_3_3_7_7_wgs_189_tpt_189_dp_ip_CI_unitstride_sbrr_dirReg, .Lfunc_end0-fft_rtc_fwd_len1323_factors_3_3_3_7_7_wgs_189_tpt_189_dp_ip_CI_unitstride_sbrr_dirReg
                                        ; -- End function
	.section	.AMDGPU.csdata,"",@progbits
; Kernel info:
; codeLenInByte = 6512
; NumSgprs: 27
; NumVgprs: 79
; ScratchSize: 0
; MemoryBound: 1
; FloatMode: 240
; IeeeMode: 1
; LDSByteSize: 0 bytes/workgroup (compile time only)
; SGPRBlocks: 3
; VGPRBlocks: 9
; NumSGPRsForWavesPerEU: 27
; NumVGPRsForWavesPerEU: 79
; Occupancy: 12
; WaveLimiterHint : 1
; COMPUTE_PGM_RSRC2:SCRATCH_EN: 0
; COMPUTE_PGM_RSRC2:USER_SGPR: 6
; COMPUTE_PGM_RSRC2:TRAP_HANDLER: 0
; COMPUTE_PGM_RSRC2:TGID_X_EN: 1
; COMPUTE_PGM_RSRC2:TGID_Y_EN: 0
; COMPUTE_PGM_RSRC2:TGID_Z_EN: 0
; COMPUTE_PGM_RSRC2:TIDIG_COMP_CNT: 0
	.text
	.p2alignl 6, 3214868480
	.fill 48, 4, 3214868480
	.type	__hip_cuid_8a1ae47008e2b320,@object ; @__hip_cuid_8a1ae47008e2b320
	.section	.bss,"aw",@nobits
	.globl	__hip_cuid_8a1ae47008e2b320
__hip_cuid_8a1ae47008e2b320:
	.byte	0                               ; 0x0
	.size	__hip_cuid_8a1ae47008e2b320, 1

	.ident	"AMD clang version 19.0.0git (https://github.com/RadeonOpenCompute/llvm-project roc-6.4.0 25133 c7fe45cf4b819c5991fe208aaa96edf142730f1d)"
	.section	".note.GNU-stack","",@progbits
	.addrsig
	.addrsig_sym __hip_cuid_8a1ae47008e2b320
	.amdgpu_metadata
---
amdhsa.kernels:
  - .args:
      - .actual_access:  read_only
        .address_space:  global
        .offset:         0
        .size:           8
        .value_kind:     global_buffer
      - .offset:         8
        .size:           8
        .value_kind:     by_value
      - .actual_access:  read_only
        .address_space:  global
        .offset:         16
        .size:           8
        .value_kind:     global_buffer
      - .actual_access:  read_only
        .address_space:  global
        .offset:         24
        .size:           8
        .value_kind:     global_buffer
      - .offset:         32
        .size:           8
        .value_kind:     by_value
      - .actual_access:  read_only
        .address_space:  global
        .offset:         40
        .size:           8
        .value_kind:     global_buffer
      - .actual_access:  read_only
        .address_space:  global
        .offset:         48
        .size:           8
        .value_kind:     global_buffer
      - .offset:         56
        .size:           4
        .value_kind:     by_value
      - .actual_access:  read_only
        .address_space:  global
        .offset:         64
        .size:           8
        .value_kind:     global_buffer
      - .actual_access:  read_only
        .address_space:  global
        .offset:         72
        .size:           8
        .value_kind:     global_buffer
      - .address_space:  global
        .offset:         80
        .size:           8
        .value_kind:     global_buffer
    .group_segment_fixed_size: 0
    .kernarg_segment_align: 8
    .kernarg_segment_size: 88
    .language:       OpenCL C
    .language_version:
      - 2
      - 0
    .max_flat_workgroup_size: 189
    .name:           fft_rtc_fwd_len1323_factors_3_3_3_7_7_wgs_189_tpt_189_dp_ip_CI_unitstride_sbrr_dirReg
    .private_segment_fixed_size: 0
    .sgpr_count:     27
    .sgpr_spill_count: 0
    .symbol:         fft_rtc_fwd_len1323_factors_3_3_3_7_7_wgs_189_tpt_189_dp_ip_CI_unitstride_sbrr_dirReg.kd
    .uniform_work_group_size: 1
    .uses_dynamic_stack: false
    .vgpr_count:     79
    .vgpr_spill_count: 0
    .wavefront_size: 32
    .workgroup_processor_mode: 1
amdhsa.target:   amdgcn-amd-amdhsa--gfx1030
amdhsa.version:
  - 1
  - 2
...

	.end_amdgpu_metadata
